;; amdgpu-corpus repo=ROCm/rocFFT kind=compiled arch=gfx950 opt=O3
	.text
	.amdgcn_target "amdgcn-amd-amdhsa--gfx950"
	.amdhsa_code_object_version 6
	.protected	fft_rtc_fwd_len102_factors_17_6_wgs_119_tpt_17_halfLds_half_op_CI_CI_unitstride_sbrr_C2R_dirReg ; -- Begin function fft_rtc_fwd_len102_factors_17_6_wgs_119_tpt_17_halfLds_half_op_CI_CI_unitstride_sbrr_C2R_dirReg
	.globl	fft_rtc_fwd_len102_factors_17_6_wgs_119_tpt_17_halfLds_half_op_CI_CI_unitstride_sbrr_C2R_dirReg
	.p2align	8
	.type	fft_rtc_fwd_len102_factors_17_6_wgs_119_tpt_17_halfLds_half_op_CI_CI_unitstride_sbrr_C2R_dirReg,@function
fft_rtc_fwd_len102_factors_17_6_wgs_119_tpt_17_halfLds_half_op_CI_CI_unitstride_sbrr_C2R_dirReg: ; @fft_rtc_fwd_len102_factors_17_6_wgs_119_tpt_17_halfLds_half_op_CI_CI_unitstride_sbrr_C2R_dirReg
; %bb.0:
	s_load_dwordx4 s[4:7], s[0:1], 0x58
	s_load_dwordx4 s[8:11], s[0:1], 0x0
	;; [unrolled: 1-line block ×3, first 2 shown]
	v_mul_u32_u24_e32 v1, 0xf10, v0
	v_lshrrev_b32_e32 v2, 16, v1
	v_mad_u64_u32 v[6:7], s[2:3], s2, 7, v[2:3]
	v_mov_b32_e32 v10, 0
	v_mov_b32_e32 v7, v10
	s_waitcnt lgkmcnt(0)
	v_cmp_lt_u64_e64 s[2:3], s[10:11], 2
	v_mov_b64_e32 v[8:9], 0
	s_and_b64 vcc, exec, s[2:3]
	v_mov_b64_e32 v[2:3], v[8:9]
	v_mov_b64_e32 v[4:5], v[6:7]
	s_cbranch_vccnz .LBB0_8
; %bb.1:
	s_load_dwordx2 s[2:3], s[0:1], 0x10
	s_add_u32 s16, s14, 8
	s_addc_u32 s17, s15, 0
	s_add_u32 s18, s12, 8
	s_addc_u32 s19, s13, 0
	s_waitcnt lgkmcnt(0)
	s_add_u32 s20, s2, 8
	v_mov_b64_e32 v[8:9], 0
	s_addc_u32 s21, s3, 0
	s_mov_b64 s[22:23], 1
	v_mov_b64_e32 v[2:3], v[8:9]
	v_mov_b64_e32 v[12:13], v[6:7]
.LBB0_2:                                ; =>This Inner Loop Header: Depth=1
	s_load_dwordx2 s[24:25], s[20:21], 0x0
                                        ; implicit-def: $vgpr4_vgpr5
	s_waitcnt lgkmcnt(0)
	v_or_b32_e32 v11, s25, v13
	v_cmp_ne_u64_e32 vcc, 0, v[10:11]
	s_and_saveexec_b64 s[2:3], vcc
	s_xor_b64 s[26:27], exec, s[2:3]
	s_cbranch_execz .LBB0_4
; %bb.3:                                ;   in Loop: Header=BB0_2 Depth=1
	v_cvt_f32_u32_e32 v1, s24
	v_cvt_f32_u32_e32 v4, s25
	s_sub_u32 s2, 0, s24
	s_subb_u32 s3, 0, s25
	v_fmac_f32_e32 v1, 0x4f800000, v4
	v_rcp_f32_e32 v1, v1
	s_nop 0
	v_mul_f32_e32 v1, 0x5f7ffffc, v1
	v_mul_f32_e32 v4, 0x2f800000, v1
	v_trunc_f32_e32 v4, v4
	v_fmac_f32_e32 v1, 0xcf800000, v4
	v_cvt_u32_f32_e32 v7, v4
	v_cvt_u32_f32_e32 v1, v1
	v_mul_lo_u32 v4, s2, v7
	v_mul_hi_u32 v11, s2, v1
	v_mul_lo_u32 v5, s3, v1
	v_add_u32_e32 v11, v11, v4
	v_mul_lo_u32 v16, s2, v1
	v_add_u32_e32 v11, v11, v5
	v_mul_hi_u32 v4, v1, v16
	v_mul_hi_u32 v15, v1, v11
	v_mul_lo_u32 v14, v1, v11
	v_mov_b32_e32 v5, v10
	v_lshl_add_u64 v[4:5], v[4:5], 0, v[14:15]
	v_mul_hi_u32 v15, v7, v16
	v_mul_lo_u32 v16, v7, v16
	v_add_co_u32_e32 v4, vcc, v4, v16
	v_mul_hi_u32 v14, v7, v11
	s_nop 0
	v_addc_co_u32_e32 v4, vcc, v5, v15, vcc
	v_mov_b32_e32 v5, v10
	s_nop 0
	v_addc_co_u32_e32 v15, vcc, 0, v14, vcc
	v_mul_lo_u32 v14, v7, v11
	v_lshl_add_u64 v[4:5], v[4:5], 0, v[14:15]
	v_add_co_u32_e32 v1, vcc, v1, v4
	v_mul_lo_u32 v14, s2, v1
	s_nop 0
	v_addc_co_u32_e32 v7, vcc, v7, v5, vcc
	v_mul_lo_u32 v4, s2, v7
	v_mul_hi_u32 v5, s2, v1
	v_add_u32_e32 v4, v5, v4
	v_mul_lo_u32 v5, s3, v1
	v_add_u32_e32 v11, v4, v5
	v_mul_hi_u32 v17, v7, v14
	v_mul_lo_u32 v18, v7, v14
	v_mul_hi_u32 v5, v1, v11
	v_mul_lo_u32 v4, v1, v11
	v_mul_hi_u32 v14, v1, v14
	v_mov_b32_e32 v15, v10
	v_lshl_add_u64 v[4:5], v[14:15], 0, v[4:5]
	v_add_co_u32_e32 v4, vcc, v4, v18
	v_mul_hi_u32 v16, v7, v11
	s_nop 0
	v_addc_co_u32_e32 v4, vcc, v5, v17, vcc
	v_mul_lo_u32 v14, v7, v11
	s_nop 0
	v_addc_co_u32_e32 v15, vcc, 0, v16, vcc
	v_mov_b32_e32 v5, v10
	v_lshl_add_u64 v[4:5], v[4:5], 0, v[14:15]
	v_add_co_u32_e32 v1, vcc, v1, v4
	v_mul_hi_u32 v14, v12, v1
	s_nop 0
	v_addc_co_u32_e32 v7, vcc, v7, v5, vcc
	v_mad_u64_u32 v[4:5], s[2:3], v12, v7, 0
	v_mov_b32_e32 v15, v10
	v_lshl_add_u64 v[4:5], v[14:15], 0, v[4:5]
	v_mad_u64_u32 v[16:17], s[2:3], v13, v1, 0
	v_add_co_u32_e32 v1, vcc, v4, v16
	v_mad_u64_u32 v[14:15], s[2:3], v13, v7, 0
	s_nop 0
	v_addc_co_u32_e32 v4, vcc, v5, v17, vcc
	v_mov_b32_e32 v5, v10
	s_nop 0
	v_addc_co_u32_e32 v15, vcc, 0, v15, vcc
	v_lshl_add_u64 v[4:5], v[4:5], 0, v[14:15]
	v_mul_lo_u32 v1, s25, v4
	v_mul_lo_u32 v7, s24, v5
	v_mad_u64_u32 v[14:15], s[2:3], s24, v4, 0
	v_add3_u32 v1, v15, v7, v1
	v_sub_u32_e32 v7, v13, v1
	v_mov_b32_e32 v11, s25
	v_sub_co_u32_e32 v18, vcc, v12, v14
	v_lshl_add_u64 v[16:17], v[4:5], 0, 1
	s_nop 0
	v_subb_co_u32_e64 v7, s[2:3], v7, v11, vcc
	v_subrev_co_u32_e64 v11, s[2:3], s24, v18
	v_subb_co_u32_e32 v1, vcc, v13, v1, vcc
	s_nop 0
	v_subbrev_co_u32_e64 v7, s[2:3], 0, v7, s[2:3]
	v_cmp_le_u32_e64 s[2:3], s25, v7
	v_cmp_le_u32_e32 vcc, s25, v1
	s_nop 0
	v_cndmask_b32_e64 v14, 0, -1, s[2:3]
	v_cmp_le_u32_e64 s[2:3], s24, v11
	s_nop 1
	v_cndmask_b32_e64 v11, 0, -1, s[2:3]
	v_cmp_eq_u32_e64 s[2:3], s25, v7
	s_nop 1
	v_cndmask_b32_e64 v7, v14, v11, s[2:3]
	v_lshl_add_u64 v[14:15], v[4:5], 0, 2
	v_cmp_ne_u32_e64 s[2:3], 0, v7
	v_cndmask_b32_e64 v11, 0, -1, vcc
	v_cmp_le_u32_e32 vcc, s24, v18
	v_cndmask_b32_e64 v7, v17, v15, s[2:3]
	s_nop 0
	v_cndmask_b32_e64 v15, 0, -1, vcc
	v_cmp_eq_u32_e32 vcc, s25, v1
	s_nop 1
	v_cndmask_b32_e32 v1, v11, v15, vcc
	v_cmp_ne_u32_e32 vcc, 0, v1
	v_cndmask_b32_e64 v1, v16, v14, s[2:3]
	s_nop 0
	v_cndmask_b32_e32 v5, v5, v7, vcc
	v_cndmask_b32_e32 v4, v4, v1, vcc
.LBB0_4:                                ;   in Loop: Header=BB0_2 Depth=1
	s_andn2_saveexec_b64 s[2:3], s[26:27]
	s_cbranch_execz .LBB0_6
; %bb.5:                                ;   in Loop: Header=BB0_2 Depth=1
	v_cvt_f32_u32_e32 v1, s24
	s_sub_i32 s26, 0, s24
	v_rcp_iflag_f32_e32 v1, v1
	s_nop 0
	v_mul_f32_e32 v1, 0x4f7ffffe, v1
	v_cvt_u32_f32_e32 v1, v1
	v_mul_lo_u32 v4, s26, v1
	v_mul_hi_u32 v4, v1, v4
	v_add_u32_e32 v1, v1, v4
	v_mul_hi_u32 v1, v12, v1
	v_mul_lo_u32 v4, v1, s24
	v_sub_u32_e32 v4, v12, v4
	v_add_u32_e32 v5, 1, v1
	v_subrev_u32_e32 v7, s24, v4
	v_cmp_le_u32_e32 vcc, s24, v4
	s_nop 1
	v_cndmask_b32_e32 v4, v4, v7, vcc
	v_cndmask_b32_e32 v1, v1, v5, vcc
	v_add_u32_e32 v5, 1, v1
	v_cmp_le_u32_e32 vcc, s24, v4
	s_nop 1
	v_cndmask_b32_e32 v4, v1, v5, vcc
	v_mov_b32_e32 v5, v10
.LBB0_6:                                ;   in Loop: Header=BB0_2 Depth=1
	s_or_b64 exec, exec, s[2:3]
	v_mad_u64_u32 v[14:15], s[2:3], v4, s24, 0
	s_load_dwordx2 s[2:3], s[18:19], 0x0
	s_add_u32 s22, s22, 1
	v_mul_lo_u32 v1, v5, s24
	v_mul_lo_u32 v7, v4, s25
	s_load_dwordx2 s[24:25], s[16:17], 0x0
	s_addc_u32 s23, s23, 0
	v_add3_u32 v1, v15, v7, v1
	v_sub_co_u32_e32 v7, vcc, v12, v14
	s_add_u32 s16, s16, 8
	s_nop 0
	v_subb_co_u32_e32 v1, vcc, v13, v1, vcc
	s_addc_u32 s17, s17, 0
	s_waitcnt lgkmcnt(0)
	v_mul_lo_u32 v11, s2, v1
	v_mul_lo_u32 v12, s3, v7
	v_mad_u64_u32 v[8:9], s[2:3], s2, v7, v[8:9]
	s_add_u32 s18, s18, 8
	v_add3_u32 v9, v12, v9, v11
	s_addc_u32 s19, s19, 0
	v_mov_b64_e32 v[12:13], s[10:11]
	v_mul_lo_u32 v1, s24, v1
	v_mul_lo_u32 v11, s25, v7
	v_mad_u64_u32 v[2:3], s[2:3], s24, v7, v[2:3]
	s_add_u32 s20, s20, 8
	v_cmp_ge_u64_e32 vcc, s[22:23], v[12:13]
	v_add3_u32 v3, v11, v3, v1
	s_addc_u32 s21, s21, 0
	s_cbranch_vccnz .LBB0_8
; %bb.7:                                ;   in Loop: Header=BB0_2 Depth=1
	v_mov_b64_e32 v[12:13], v[4:5]
	s_branch .LBB0_2
.LBB0_8:
	s_lshl_b64 s[16:17], s[10:11], 3
	s_mov_b32 s10, 0x24924925
	v_mul_hi_u32 v1, v6, s10
	s_load_dwordx2 s[0:1], s[0:1], 0x28
	v_sub_u32_e32 v7, v6, v1
	v_lshrrev_b32_e32 v7, 1, v7
	v_add_u32_e32 v1, v7, v1
	v_lshrrev_b32_e32 v1, 2, v1
	s_add_u32 s2, s14, s16
	v_mul_lo_u32 v1, v1, 7
	s_addc_u32 s3, s15, s17
	v_sub_u32_e32 v1, v6, v1
	s_waitcnt lgkmcnt(0)
	v_cmp_gt_u64_e32 vcc, s[0:1], v[4:5]
	v_cmp_le_u64_e64 s[0:1], s[0:1], v[4:5]
                                        ; implicit-def: $vgpr6
	s_and_saveexec_b64 s[10:11], s[0:1]
	s_xor_b64 s[0:1], exec, s[10:11]
; %bb.9:
	s_mov_b32 s10, 0xf0f0f10
	v_mul_hi_u32 v6, v0, s10
	v_mul_u32_u24_e32 v6, 17, v6
	v_sub_u32_e32 v6, v0, v6
                                        ; implicit-def: $vgpr0
                                        ; implicit-def: $vgpr8_vgpr9
; %bb.10:
	s_or_saveexec_b64 s[10:11], s[0:1]
	s_load_dwordx2 s[2:3], s[2:3], 0x0
	v_mul_u32_u24_e32 v7, 0x67, v1
	v_lshlrev_b32_e32 v23, 2, v7
	s_xor_b64 exec, exec, s[10:11]
	s_cbranch_execz .LBB0_14
; %bb.11:
	s_add_u32 s0, s12, s16
	s_addc_u32 s1, s13, s17
	s_load_dwordx2 s[0:1], s[0:1], 0x0
	s_mov_b32 s12, 0xf0f0f10
	s_waitcnt lgkmcnt(0)
	v_mul_lo_u32 v1, s1, v4
	v_mul_lo_u32 v6, s0, v5
	v_mad_u64_u32 v[10:11], s[0:1], s0, v4, 0
	v_add3_u32 v11, v11, v6, v1
	v_mul_hi_u32 v1, v0, s12
	v_mul_u32_u24_e32 v1, 17, v1
	v_sub_u32_e32 v6, v0, v1
	v_lshl_add_u64 v[0:1], v[10:11], 2, s[4:5]
	v_lshl_add_u64 v[0:1], v[8:9], 2, v[0:1]
	v_lshlrev_b32_e32 v8, 2, v6
	v_mov_b32_e32 v9, 0
	v_lshl_add_u64 v[10:11], v[0:1], 0, v[8:9]
	global_load_dword v9, v[10:11], off
	global_load_dword v12, v[10:11], off offset:68
	global_load_dword v13, v[10:11], off offset:136
	;; [unrolled: 1-line block ×5, first 2 shown]
	v_add3_u32 v8, 0, v23, v8
	v_cmp_eq_u32_e64 s[0:1], 16, v6
	s_waitcnt vmcnt(4)
	ds_write2_b32 v8, v9, v12 offset1:17
	s_waitcnt vmcnt(2)
	ds_write2_b32 v8, v13, v14 offset0:34 offset1:51
	s_waitcnt vmcnt(0)
	ds_write2_b32 v8, v15, v16 offset0:68 offset1:85
	s_and_saveexec_b64 s[4:5], s[0:1]
	s_cbranch_execz .LBB0_13
; %bb.12:
	global_load_dword v0, v[0:1], off offset:408
	v_mov_b32_e32 v6, 16
	s_waitcnt vmcnt(0)
	ds_write_b32 v8, v0 offset:344
.LBB0_13:
	s_or_b64 exec, exec, s[4:5]
.LBB0_14:
	s_or_b64 exec, exec, s[10:11]
	v_lshl_add_u32 v22, v7, 2, 0
	v_lshlrev_b32_e32 v9, 2, v6
	v_add_u32_e32 v24, v22, v9
	s_waitcnt lgkmcnt(0)
	s_barrier
	v_sub_u32_e32 v8, v22, v9
	ds_read_u16 v12, v24
	ds_read_u16 v13, v8 offset:408
	v_cmp_ne_u32_e64 s[0:1], 0, v6
                                        ; implicit-def: $vgpr0_vgpr1
	s_waitcnt lgkmcnt(0)
	v_add_f16_e32 v10, v13, v12
	v_sub_f16_e32 v11, v12, v13
	s_and_saveexec_b64 s[4:5], s[0:1]
	s_xor_b64 s[0:1], exec, s[4:5]
	s_cbranch_execz .LBB0_16
; %bb.15:
	v_mov_b32_e32 v7, 0
	v_lshl_add_u64 v[0:1], v[6:7], 2, s[8:9]
	global_load_dword v0, v[0:1], off offset:340
	ds_read_u16 v1, v8 offset:410
	ds_read_u16 v10, v24 offset:2
	v_add_f16_e32 v11, v13, v12
	v_sub_f16_e32 v12, v12, v13
	s_waitcnt lgkmcnt(0)
	v_add_f16_e32 v13, v1, v10
	v_sub_f16_e32 v1, v10, v1
	s_waitcnt vmcnt(0)
	v_lshrrev_b32_e32 v10, 16, v0
	v_fma_f16 v14, v12, v10, v11
	v_fma_f16 v15, v13, v10, v1
	v_fma_f16 v16, -v12, v10, v11
	v_fma_f16 v1, v13, v10, -v1
	v_fma_f16 v10, -v0, v13, v14
	v_fma_f16 v11, v12, v0, v15
	v_fma_f16 v13, v0, v13, v16
	;; [unrolled: 1-line block ×3, first 2 shown]
	v_pack_b32_f16 v0, v13, v0
	ds_write_b32 v8, v0 offset:408
	v_mov_b64_e32 v[0:1], v[6:7]
.LBB0_16:
	s_andn2_saveexec_b64 s[0:1], s[0:1]
	s_cbranch_execz .LBB0_18
; %bb.17:
	ds_read_b32 v0, v22 offset:204
	s_mov_b32 s4, 0xc0004000
	s_waitcnt lgkmcnt(0)
	v_pk_mul_f16 v0, v0, s4
	ds_write_b32 v22, v0 offset:204
	v_mov_b64_e32 v[0:1], 0
.LBB0_18:
	s_or_b64 exec, exec, s[0:1]
	s_add_u32 s0, s8, 0x154
	s_addc_u32 s1, s9, 0
	v_lshl_add_u64 v[0:1], v[0:1], 2, s[0:1]
	global_load_dword v7, v[0:1], off offset:68
	global_load_dword v12, v[0:1], off offset:136
	s_mov_b32 s0, 0x5040100
	v_perm_b32 v0, v11, v10, s0
	ds_write_b32 v24, v0
	ds_read_b32 v0, v24 offset:68
	ds_read_b32 v1, v8 offset:340
	v_cmp_gt_u32_e64 s[0:1], 6, v6
	s_waitcnt lgkmcnt(0)
	v_add_f16_e32 v10, v0, v1
	v_add_f16_sdwa v11, v1, v0 dst_sel:DWORD dst_unused:UNUSED_PAD src0_sel:WORD_1 src1_sel:WORD_1
	v_sub_f16_e32 v13, v0, v1
	v_sub_f16_sdwa v0, v0, v1 dst_sel:DWORD dst_unused:UNUSED_PAD src0_sel:WORD_1 src1_sel:WORD_1
	s_waitcnt vmcnt(1)
	v_lshrrev_b32_e32 v1, 16, v7
	v_fma_f16 v14, v13, v1, v10
	v_fma_f16 v15, v11, v1, v0
	v_fma_f16 v10, -v13, v1, v10
	v_fma_f16 v0, v11, v1, -v0
	v_fma_f16 v1, -v7, v11, v14
	v_fma_f16 v14, v13, v7, v15
	v_fma_f16 v10, v7, v11, v10
	v_fma_f16 v0, v13, v7, v0
	v_pack_b32_f16 v1, v1, v14
	v_pack_b32_f16 v0, v10, v0
	ds_write_b32 v24, v1 offset:68
	ds_write_b32 v8, v0 offset:340
	ds_read_b32 v0, v24 offset:136
	ds_read_b32 v1, v8 offset:272
	v_add3_u32 v7, 0, v9, v23
	s_waitcnt vmcnt(0)
	v_lshrrev_b32_e32 v9, 16, v12
	s_waitcnt lgkmcnt(0)
	v_add_f16_e32 v10, v0, v1
	v_add_f16_sdwa v11, v1, v0 dst_sel:DWORD dst_unused:UNUSED_PAD src0_sel:WORD_1 src1_sel:WORD_1
	v_sub_f16_e32 v13, v0, v1
	v_sub_f16_sdwa v0, v0, v1 dst_sel:DWORD dst_unused:UNUSED_PAD src0_sel:WORD_1 src1_sel:WORD_1
	v_fma_f16 v1, v13, v9, v10
	v_fma_f16 v14, v11, v9, v0
	v_fma_f16 v10, -v13, v9, v10
	v_fma_f16 v0, v11, v9, -v0
	v_fma_f16 v1, -v12, v11, v1
	v_fma_f16 v9, v13, v12, v14
	v_fma_f16 v10, v12, v11, v10
	;; [unrolled: 1-line block ×3, first 2 shown]
	v_pack_b32_f16 v1, v1, v9
	v_pack_b32_f16 v0, v10, v0
	ds_write_b32 v24, v1 offset:136
	ds_write_b32 v8, v0 offset:272
	s_waitcnt lgkmcnt(0)
	s_barrier
	s_barrier
	ds_read_b32 v25, v24
	ds_read2_b32 v[20:21], v7 offset0:6 offset1:12
	ds_read2_b32 v[18:19], v7 offset0:18 offset1:24
	;; [unrolled: 1-line block ×8, first 2 shown]
	s_waitcnt lgkmcnt(0)
	s_barrier
	s_and_saveexec_b64 s[4:5], s[0:1]
	s_cbranch_execz .LBB0_20
; %bb.19:
	v_sub_f16_e32 v51, v20, v1
	v_mul_f16_e32 v39, 0xb1e1, v51
	v_add_f16_sdwa v27, v1, v20 dst_sel:DWORD dst_unused:UNUSED_PAD src0_sel:WORD_1 src1_sel:WORD_1
	s_mov_b32 s0, 0xbbdd
	v_sub_f16_e32 v52, v21, v0
	v_fma_f16 v26, v27, s0, v39
	v_mul_f16_e32 v40, 0x35c8, v52
	v_add_f16_sdwa v28, v0, v21 dst_sel:DWORD dst_unused:UNUSED_PAD src0_sel:WORD_1 src1_sel:WORD_1
	s_movk_i32 s10, 0x3b76
	v_add_f16_sdwa v26, v25, v26 dst_sel:DWORD dst_unused:UNUSED_PAD src0_sel:WORD_1 src1_sel:DWORD
	v_fma_f16 v29, v28, s10, v40
	v_sub_f16_e32 v53, v18, v9
	v_add_f16_e32 v26, v29, v26
	v_mul_f16_e32 v41, 0xb836, v53
	v_add_f16_sdwa v29, v9, v18 dst_sel:DWORD dst_unused:UNUSED_PAD src0_sel:WORD_1 src1_sel:WORD_1
	s_mov_b32 s1, 0xbacd
	v_fma_f16 v30, v29, s1, v41
	v_sub_f16_e32 v54, v19, v8
	v_add_f16_e32 v26, v30, v26
	v_mul_f16_e32 v42, 0x3964, v54
	v_add_f16_sdwa v30, v8, v19 dst_sel:DWORD dst_unused:UNUSED_PAD src0_sel:WORD_1 src1_sel:WORD_1
	s_movk_i32 s12, 0x39e9
	v_fma_f16 v31, v30, s12, v42
	v_sub_f16_e32 v55, v10, v13
	v_add_f16_e32 v26, v31, v26
	v_mul_f16_e32 v43, 0xba62, v55
	v_add_f16_sdwa v31, v13, v10 dst_sel:DWORD dst_unused:UNUSED_PAD src0_sel:WORD_1 src1_sel:WORD_1
	s_mov_b32 s11, 0xb8d2
	v_fma_f16 v32, v31, s11, v43
	v_sub_f16_e32 v56, v11, v12
	v_add_f16_e32 v26, v32, v26
	v_mul_f16_e32 v44, 0x3b29, v56
	v_add_f16_sdwa v32, v12, v11 dst_sel:DWORD dst_unused:UNUSED_PAD src0_sel:WORD_1 src1_sel:WORD_1
	s_movk_i32 s13, 0x3722
	;; [unrolled: 12-line block ×3, first 2 shown]
	v_fma_f16 v35, v34, s15, v46
	v_sub_f16_sdwa v59, v20, v1 dst_sel:DWORD dst_unused:UNUSED_PAD src0_sel:WORD_1 src1_sel:WORD_1
	v_add_f16_e32 v26, v35, v26
	v_add_f16_e32 v35, v1, v20
	v_mul_f16_e32 v47, 0xb1e1, v59
	v_fma_f16 v36, v35, s0, -v47
	v_sub_f16_sdwa v60, v21, v0 dst_sel:DWORD dst_unused:UNUSED_PAD src0_sel:WORD_1 src1_sel:WORD_1
	v_add_f16_e32 v37, v25, v36
	v_add_f16_e32 v36, v0, v21
	v_mul_f16_e32 v48, 0x35c8, v60
	v_fma_f16 v38, v36, s10, -v48
	;; [unrolled: 5-line block ×4, first 2 shown]
	v_add_f16_e32 v63, v64, v63
	v_add_f16_e32 v64, v25, v20
	v_add_f16_sdwa v20, v25, v20 dst_sel:DWORD dst_unused:UNUSED_PAD src0_sel:WORD_1 src1_sel:WORD_1
	v_add_f16_e32 v64, v64, v21
	v_add_f16_sdwa v65, v20, v21 dst_sel:DWORD dst_unused:UNUSED_PAD src0_sel:DWORD src1_sel:WORD_1
	v_add_f16_e32 v64, v64, v18
	v_add_f16_sdwa v18, v65, v18 dst_sel:DWORD dst_unused:UNUSED_PAD src0_sel:DWORD src1_sel:WORD_1
	;; [unrolled: 2-line block ×5, first 2 shown]
	v_add_f16_e32 v20, v15, v16
	v_sub_f16_sdwa v65, v16, v15 dst_sel:DWORD dst_unused:UNUSED_PAD src0_sel:WORD_1 src1_sel:WORD_1
	v_add_f16_e32 v64, v64, v16
	v_add_f16_sdwa v16, v19, v16 dst_sel:DWORD dst_unused:UNUSED_PAD src0_sel:DWORD src1_sel:WORD_1
	v_add_f16_e32 v64, v64, v17
	v_add_f16_sdwa v16, v16, v17 dst_sel:DWORD dst_unused:UNUSED_PAD src0_sel:DWORD src1_sel:WORD_1
	v_sub_f16_sdwa v19, v10, v13 dst_sel:DWORD dst_unused:UNUSED_PAD src0_sel:WORD_1 src1_sel:WORD_1
	v_add_f16_e32 v21, v13, v10
	v_add_f16_e32 v18, v14, v17
	v_sub_f16_sdwa v17, v17, v14 dst_sel:DWORD dst_unused:UNUSED_PAD src0_sel:WORD_1 src1_sel:WORD_1
	v_add_f16_e32 v10, v64, v14
	v_add_f16_sdwa v14, v16, v14 dst_sel:DWORD dst_unused:UNUSED_PAD src0_sel:DWORD src1_sel:WORD_1
	v_mul_f16_e32 v16, 0xba62, v19
	v_add_f16_e32 v10, v10, v15
	v_add_f16_sdwa v15, v14, v15 dst_sel:DWORD dst_unused:UNUSED_PAD src0_sel:DWORD src1_sel:WORD_1
	v_fma_f16 v14, v21, s11, -v16
	v_sub_f16_sdwa v64, v11, v12 dst_sel:DWORD dst_unused:UNUSED_PAD src0_sel:WORD_1 src1_sel:WORD_1
	v_add_f16_e32 v63, v14, v63
	v_add_f16_e32 v14, v12, v11
	v_mul_f16_e32 v66, 0x3b29, v64
	v_fma_f16 v11, v14, s13, -v66
	v_add_f16_e32 v10, v10, v12
	v_add_f16_e32 v11, v11, v63
	;; [unrolled: 1-line block ×3, first 2 shown]
	v_add_f16_sdwa v10, v15, v12 dst_sel:DWORD dst_unused:UNUSED_PAD src0_sel:DWORD src1_sel:WORD_1
	v_add_f16_sdwa v12, v10, v13 dst_sel:DWORD dst_unused:UNUSED_PAD src0_sel:DWORD src1_sel:WORD_1
	v_mul_f16_e32 v13, 0xbbb2, v65
	v_fma_f16 v10, v20, s14, -v13
	v_mul_f16_e32 v15, 0x3bf7, v17
	v_add_f16_e32 v10, v10, v11
	v_fma_f16 v11, v18, s15, -v15
	v_add_f16_e32 v10, v11, v10
	v_add_f16_e32 v11, v63, v8
	v_add_f16_sdwa v8, v12, v8 dst_sel:DWORD dst_unused:UNUSED_PAD src0_sel:DWORD src1_sel:WORD_1
	v_mul_f16_e32 v12, 0xb836, v51
	v_add_f16_e32 v11, v11, v9
	v_add_f16_sdwa v9, v8, v9 dst_sel:DWORD dst_unused:UNUSED_PAD src0_sel:DWORD src1_sel:WORD_1
	v_fma_f16 v8, v27, s1, v12
	v_add_f16_sdwa v63, v25, v8 dst_sel:DWORD dst_unused:UNUSED_PAD src0_sel:WORD_1 src1_sel:DWORD
	v_add_f16_e32 v8, v11, v0
	v_add_f16_sdwa v0, v9, v0 dst_sel:DWORD dst_unused:UNUSED_PAD src0_sel:DWORD src1_sel:WORD_1
	v_mul_f16_e32 v67, 0x3b29, v52
	v_add_f16_e32 v8, v8, v1
	v_add_f16_sdwa v0, v0, v1 dst_sel:DWORD dst_unused:UNUSED_PAD src0_sel:DWORD src1_sel:WORD_1
	v_fma_f16 v1, v28, s13, v67
	v_add_f16_e32 v1, v1, v63
	v_mul_f16_e32 v63, 0xbbf7, v53
	v_fma_f16 v9, v29, s15, v63
	v_mul_f16_e32 v68, 0x3a62, v54
	v_add_f16_e32 v1, v9, v1
	v_fma_f16 v9, v30, s11, v68
	v_mul_f16_e32 v69, 0xb5c8, v55
	v_add_f16_e32 v1, v9, v1
	;; [unrolled: 3-line block ×6, first 2 shown]
	v_fma_f16 v9, v35, s1, -v73
	v_mul_f16_e32 v74, 0x3b29, v60
	v_add_f16_e32 v9, v25, v9
	v_fma_f16 v11, v36, s13, -v74
	v_mul_f16_e32 v75, 0xbbf7, v61
	v_add_f16_e32 v9, v11, v9
	v_fma_f16 v11, v37, s15, -v75
	v_mul_f16_e32 v76, 0x3a62, v62
	v_add_f16_e32 v9, v11, v9
	v_fma_f16 v11, v38, s11, -v76
	v_mul_f16_e32 v77, 0xb5c8, v19
	v_add_f16_e32 v9, v11, v9
	v_fma_f16 v11, v21, s10, -v77
	v_mul_f16_e32 v78, 0xb1e1, v64
	v_add_f16_e32 v9, v11, v9
	v_fma_f16 v11, v14, s0, -v78
	v_mul_f16_e32 v79, 0x3964, v65
	v_add_f16_e32 v9, v11, v9
	v_fma_f16 v11, v20, s12, -v79
	v_mul_f16_e32 v80, 0xbbb2, v17
	v_add_f16_e32 v9, v11, v9
	v_fma_f16 v11, v18, s14, -v80
	v_mul_f16_e32 v81, 0xba62, v51
	v_add_f16_e32 v9, v11, v9
	v_fma_f16 v11, v27, s11, v81
	v_mul_f16_e32 v82, 0x3bb2, v52
	v_add_f16_sdwa v11, v25, v11 dst_sel:DWORD dst_unused:UNUSED_PAD src0_sel:WORD_1 src1_sel:DWORD
	v_fma_f16 v83, v28, s14, v82
	v_add_f16_e32 v11, v83, v11
	v_mul_f16_e32 v83, 0xb5c8, v53
	v_fma_f16 v84, v29, s10, v83
	v_add_f16_e32 v11, v84, v11
	v_mul_f16_e32 v84, 0xb836, v54
	;; [unrolled: 3-line block ×7, first 2 shown]
	v_fma_f16 v90, v35, s11, -v89
	v_mul_f16_e32 v91, 0x3bb2, v60
	v_add_f16_e32 v90, v25, v90
	v_fma_f16 v92, v36, s14, -v91
	v_add_f16_e32 v90, v92, v90
	v_mul_f16_e32 v92, 0xb5c8, v61
	v_fma_f16 v93, v37, s10, -v92
	v_add_f16_e32 v90, v93, v90
	v_mul_f16_e32 v93, 0xb836, v62
	;; [unrolled: 3-line block ×7, first 2 shown]
	v_fma_f16 v99, v27, s14, v98
	v_mul_f16_e32 v100, 0x3836, v52
	v_add_f16_sdwa v99, v25, v99 dst_sel:DWORD dst_unused:UNUSED_PAD src0_sel:WORD_1 src1_sel:DWORD
	v_fma_f16 v101, v28, s1, v100
	v_add_f16_e32 v99, v101, v99
	v_mul_f16_e32 v101, 0x3964, v53
	v_fma_f16 v102, v29, s12, v101
	v_add_f16_e32 v99, v102, v99
	v_mul_f16_e32 v102, 0xbb29, v54
	v_fma_f16 v103, v30, s13, v102
	v_add_f16_e32 v99, v103, v99
	v_mul_f16_e32 v103, 0xb1e1, v55
	v_fma_f16 v104, v31, s0, v103
	v_add_f16_e32 v99, v104, v99
	v_mul_f16_e32 v104, 0x3bf7, v56
	v_fma_f16 v105, v32, s15, v104
	v_add_f16_e32 v99, v105, v99
	v_mul_f16_e32 v105, 0xb5c8, v57
	v_fma_f16 v106, v33, s10, v105
	v_add_f16_e32 v99, v106, v99
	v_mul_f16_e32 v106, 0xba62, v58
	v_fma_f16 v107, v34, s11, v106
	v_add_f16_e32 v99, v107, v99
	v_mul_f16_e32 v107, 0xbbb2, v59
	v_fma_f16 v108, v35, s14, -v107
	v_mul_f16_e32 v109, 0x3836, v60
	v_add_f16_e32 v108, v25, v108
	v_fma_f16 v110, v36, s1, -v109
	v_add_f16_e32 v108, v110, v108
	v_mul_f16_e32 v110, 0x3964, v61
	v_fma_f16 v111, v37, s12, -v110
	v_add_f16_e32 v108, v111, v108
	v_mul_f16_e32 v111, 0xbb29, v62
	;; [unrolled: 3-line block ×4, first 2 shown]
	v_fma_f16 v114, v14, s15, -v113
	v_fma_f16 v39, v27, s0, -v39
	v_add_f16_e32 v108, v114, v108
	v_mul_f16_e32 v114, 0xb5c8, v65
	v_add_f16_sdwa v39, v25, v39 dst_sel:DWORD dst_unused:UNUSED_PAD src0_sel:WORD_1 src1_sel:DWORD
	v_fma_f16 v40, v28, s10, -v40
	v_fma_f16 v115, v20, s10, -v114
	v_add_f16_e32 v39, v40, v39
	v_fma_f16 v40, v29, s1, -v41
	v_add_f16_e32 v108, v115, v108
	v_mul_f16_e32 v115, 0xba62, v17
	v_add_f16_e32 v39, v40, v39
	v_fma_f16 v40, v30, s12, -v42
	v_fma_f16 v116, v18, s11, -v115
	v_add_f16_e32 v39, v40, v39
	v_fma_f16 v40, v31, s11, -v43
	v_add_f16_e32 v108, v116, v108
	v_mul_f16_e32 v116, 0xbbf7, v51
	v_add_f16_e32 v39, v40, v39
	v_fma_f16 v40, v32, s13, -v44
	v_fma_f16 v117, v27, s15, v116
	v_mul_f16_e32 v118, 0xb1e1, v52
	v_add_f16_e32 v39, v40, v39
	v_fma_f16 v40, v33, s14, -v45
	v_add_f16_sdwa v117, v25, v117 dst_sel:DWORD dst_unused:UNUSED_PAD src0_sel:WORD_1 src1_sel:DWORD
	v_fma_f16 v119, v28, s0, v118
	v_add_f16_e32 v39, v40, v39
	v_fma_f16 v40, v34, s15, -v46
	v_add_f16_e32 v117, v119, v117
	v_mul_f16_e32 v119, 0x3bb2, v53
	v_add_f16_e32 v39, v40, v39
	v_fma_f16 v40, v35, s0, v47
	v_fma_f16 v120, v29, s14, v119
	v_add_f16_e32 v40, v25, v40
	v_fma_f16 v41, v36, s10, v48
	v_add_f16_e32 v117, v120, v117
	v_mul_f16_e32 v120, 0x35c8, v54
	v_add_f16_e32 v40, v41, v40
	v_fma_f16 v41, v37, s1, v49
	v_fma_f16 v121, v30, s10, v120
	v_add_f16_e32 v40, v41, v40
	v_fma_f16 v41, v38, s12, v50
	;; [unrolled: 7-line block ×4, first 2 shown]
	v_fma_f16 v12, v27, s1, -v12
	v_add_f16_e32 v117, v123, v117
	v_mul_f16_e32 v123, 0x3a62, v57
	v_add_f16_e32 v13, v15, v13
	v_add_f16_sdwa v12, v25, v12 dst_sel:DWORD dst_unused:UNUSED_PAD src0_sel:WORD_1 src1_sel:DWORD
	v_fma_f16 v15, v28, s13, -v67
	v_fma_f16 v124, v33, s11, v123
	v_add_f16_e32 v12, v15, v12
	v_fma_f16 v15, v29, s15, -v63
	v_add_f16_e32 v117, v124, v117
	v_mul_f16_e32 v124, 0x3964, v58
	v_add_f16_e32 v12, v15, v12
	v_fma_f16 v15, v30, s11, -v68
	v_fma_f16 v125, v34, s12, v124
	v_add_f16_e32 v12, v15, v12
	v_fma_f16 v15, v31, s10, -v69
	v_add_f16_e32 v117, v125, v117
	v_mul_f16_e32 v125, 0xbbf7, v59
	v_add_f16_e32 v12, v15, v12
	v_fma_f16 v15, v32, s0, -v70
	v_fma_f16 v126, v35, s15, -v125
	v_mul_f16_e32 v127, 0xb1e1, v60
	v_add_f16_e32 v12, v15, v12
	v_fma_f16 v15, v33, s12, -v71
	v_add_f16_e32 v126, v25, v126
	v_fma_f16 v128, v36, s0, -v127
	;; [unrolled: 2-line block ×3, first 2 shown]
	v_add_f16_e32 v126, v128, v126
	v_mul_f16_e32 v128, 0x3bb2, v61
	v_add_f16_e32 v12, v15, v12
	v_fma_f16 v15, v35, s1, v73
	v_fma_f16 v129, v37, s14, -v128
	v_add_f16_e32 v15, v25, v15
	v_fma_f16 v16, v36, s13, v74
	v_add_f16_e32 v126, v129, v126
	v_mul_f16_e32 v129, 0x35c8, v62
	v_add_f16_e32 v15, v16, v15
	v_fma_f16 v16, v37, s15, v75
	v_fma_f16 v130, v38, s10, -v129
	v_add_f16_e32 v15, v16, v15
	v_fma_f16 v16, v38, s11, v76
	;; [unrolled: 7-line block ×4, first 2 shown]
	v_add_f16_e32 v126, v132, v126
	v_mul_f16_e32 v132, 0x3a62, v65
	v_add_f16_e32 v15, v16, v15
	v_fma_f16 v16, v27, s11, -v81
	v_fma_f16 v133, v20, s11, -v132
	v_add_f16_sdwa v16, v25, v16 dst_sel:DWORD dst_unused:UNUSED_PAD src0_sel:WORD_1 src1_sel:DWORD
	v_fma_f16 v40, v28, s14, -v82
	v_add_f16_e32 v126, v133, v126
	v_mul_f16_e32 v133, 0x3964, v17
	v_add_f16_e32 v16, v40, v16
	v_fma_f16 v40, v29, s10, -v83
	v_fma_f16 v134, v18, s12, -v133
	v_add_f16_e32 v16, v40, v16
	v_fma_f16 v40, v30, s1, -v84
	v_add_f16_e32 v126, v134, v126
	v_mul_f16_e32 v134, 0xbb29, v51
	v_add_f16_e32 v16, v40, v16
	v_fma_f16 v40, v31, s15, -v85
	v_fma_f16 v135, v27, s13, v134
	v_mul_f16_e32 v136, 0xba62, v52
	v_add_f16_e32 v16, v40, v16
	v_fma_f16 v40, v32, s12, -v86
	v_add_f16_sdwa v135, v25, v135 dst_sel:DWORD dst_unused:UNUSED_PAD src0_sel:WORD_1 src1_sel:DWORD
	v_fma_f16 v137, v28, s11, v136
	v_add_f16_e32 v16, v40, v16
	v_fma_f16 v40, v33, s0, -v87
	v_add_f16_e32 v135, v137, v135
	v_mul_f16_e32 v137, 0x31e1, v53
	v_add_f16_e32 v16, v40, v16
	v_fma_f16 v40, v34, s13, -v88
	v_fma_f16 v138, v29, s0, v137
	v_add_f16_e32 v16, v40, v16
	v_fma_f16 v40, v35, s11, v89
	v_add_f16_e32 v135, v138, v135
	v_mul_f16_e32 v138, 0x3bb2, v54
	v_add_f16_e32 v40, v25, v40
	v_fma_f16 v41, v36, s14, v91
	v_fma_f16 v139, v30, s14, v138
	v_add_f16_e32 v40, v41, v40
	v_fma_f16 v41, v37, s10, v92
	v_add_f16_e32 v135, v139, v135
	v_mul_f16_e32 v139, 0x3964, v55
	v_add_f16_e32 v40, v41, v40
	v_fma_f16 v41, v38, s1, v93
	;; [unrolled: 7-line block ×4, first 2 shown]
	v_fma_f16 v142, v33, s15, v141
	v_add_f16_e32 v40, v41, v40
	v_fma_f16 v41, v27, s14, -v98
	v_add_f16_e32 v135, v142, v135
	v_mul_f16_e32 v142, 0xb836, v58
	v_add_f16_sdwa v41, v25, v41 dst_sel:DWORD dst_unused:UNUSED_PAD src0_sel:WORD_1 src1_sel:DWORD
	v_fma_f16 v42, v28, s1, -v100
	v_fma_f16 v143, v34, s1, v142
	v_add_f16_e32 v41, v42, v41
	v_fma_f16 v42, v29, s12, -v101
	v_add_f16_e32 v135, v143, v135
	v_mul_f16_e32 v143, 0xbb29, v59
	v_add_f16_e32 v41, v42, v41
	v_fma_f16 v42, v30, s13, -v102
	v_fma_f16 v144, v35, s13, -v143
	v_mul_f16_e32 v145, 0xba62, v60
	v_add_f16_e32 v41, v42, v41
	v_fma_f16 v42, v31, s0, -v103
	v_add_f16_e32 v144, v25, v144
	v_fma_f16 v146, v36, s11, -v145
	;; [unrolled: 2-line block ×3, first 2 shown]
	v_add_f16_e32 v144, v146, v144
	v_mul_f16_e32 v146, 0x31e1, v61
	v_add_f16_e32 v41, v42, v41
	v_fma_f16 v42, v33, s10, -v105
	v_fma_f16 v147, v37, s0, -v146
	v_add_f16_e32 v41, v42, v41
	v_fma_f16 v42, v34, s11, -v106
	v_add_f16_e32 v144, v147, v144
	v_mul_f16_e32 v147, 0x3bb2, v62
	v_add_f16_e32 v41, v42, v41
	v_fma_f16 v42, v35, s14, v107
	v_fma_f16 v148, v38, s14, -v147
	v_add_f16_e32 v42, v25, v42
	v_fma_f16 v43, v36, s1, v109
	v_add_f16_e32 v144, v148, v144
	v_mul_f16_e32 v148, 0x3964, v19
	v_add_f16_e32 v42, v43, v42
	v_fma_f16 v43, v37, s12, v110
	v_fma_f16 v149, v21, s12, -v148
	v_add_f16_e32 v42, v43, v42
	v_fma_f16 v43, v38, s13, v111
	;; [unrolled: 7-line block ×4, first 2 shown]
	v_add_f16_e32 v144, v151, v144
	v_mul_f16_e32 v151, 0xb836, v17
	v_add_f16_e32 v42, v43, v42
	v_fma_f16 v43, v27, s15, -v116
	v_fma_f16 v152, v18, s1, -v151
	v_add_f16_sdwa v43, v25, v43 dst_sel:DWORD dst_unused:UNUSED_PAD src0_sel:WORD_1 src1_sel:DWORD
	v_fma_f16 v44, v28, s0, -v118
	v_add_f16_e32 v144, v152, v144
	v_mul_f16_e32 v152, 0xb964, v51
	v_add_f16_e32 v43, v44, v43
	v_fma_f16 v44, v29, s14, -v119
	v_fma_f16 v153, v27, s12, v152
	v_mul_f16_e32 v154, 0xbbf7, v52
	v_add_f16_e32 v43, v44, v43
	v_fma_f16 v44, v30, s10, -v120
	v_add_f16_sdwa v153, v25, v153 dst_sel:DWORD dst_unused:UNUSED_PAD src0_sel:WORD_1 src1_sel:DWORD
	v_fma_f16 v155, v28, s15, v154
	v_add_f16_e32 v43, v44, v43
	v_fma_f16 v44, v31, s13, -v121
	v_add_f16_e32 v153, v155, v153
	v_mul_f16_e32 v155, 0xba62, v53
	v_add_f16_e32 v43, v44, v43
	v_fma_f16 v44, v32, s1, -v122
	v_fma_f16 v156, v29, s11, v155
	v_add_f16_e32 v43, v44, v43
	v_fma_f16 v44, v33, s11, -v123
	v_add_f16_e32 v153, v156, v153
	v_mul_f16_e32 v156, 0xb1e1, v54
	v_add_f16_e32 v43, v44, v43
	v_fma_f16 v44, v34, s12, -v124
	v_fma_f16 v157, v30, s0, v156
	v_add_f16_e32 v43, v44, v43
	v_fma_f16 v44, v35, s15, v125
	v_add_f16_e32 v153, v157, v153
	v_mul_f16_e32 v157, 0x3836, v55
	v_add_f16_e32 v44, v25, v44
	v_fma_f16 v45, v36, s0, v127
	v_fma_f16 v158, v31, s1, v157
	v_add_f16_e32 v44, v45, v44
	v_fma_f16 v45, v37, s14, v128
	v_add_f16_e32 v153, v158, v153
	v_mul_f16_e32 v158, 0x3bb2, v56
	v_add_f16_e32 v44, v45, v44
	v_fma_f16 v45, v38, s10, v129
	v_fma_f16 v159, v32, s14, v158
	v_add_f16_e32 v44, v45, v44
	v_fma_f16 v45, v21, s13, v130
	v_add_f16_e32 v153, v159, v153
	v_mul_f16_e32 v159, 0x3b29, v57
	v_add_f16_e32 v44, v45, v44
	v_fma_f16 v45, v14, s1, v131
	v_fma_f16 v160, v33, s13, v159
	v_add_f16_e32 v44, v45, v44
	v_fma_f16 v45, v20, s11, v132
	v_add_f16_e32 v153, v160, v153
	v_mul_f16_e32 v160, 0x35c8, v58
	v_add_f16_e32 v44, v45, v44
	v_fma_f16 v45, v18, s12, v133
	v_fma_f16 v161, v34, s10, v160
	v_add_f16_e32 v44, v45, v44
	v_fma_f16 v45, v27, s13, -v134
	v_add_f16_e32 v153, v161, v153
	v_mul_f16_e32 v161, 0xb964, v59
	v_add_f16_sdwa v45, v25, v45 dst_sel:DWORD dst_unused:UNUSED_PAD src0_sel:WORD_1 src1_sel:DWORD
	v_fma_f16 v46, v28, s11, -v136
	v_fma_f16 v162, v35, s12, -v161
	v_mul_f16_e32 v163, 0xbbf7, v60
	v_add_f16_e32 v45, v46, v45
	v_fma_f16 v46, v29, s0, -v137
	v_add_f16_e32 v162, v25, v162
	v_fma_f16 v164, v36, s15, -v163
	v_add_f16_e32 v45, v46, v45
	v_fma_f16 v46, v30, s14, -v138
	v_add_f16_e32 v162, v164, v162
	v_mul_f16_e32 v164, 0xba62, v61
	v_add_f16_e32 v45, v46, v45
	v_fma_f16 v46, v31, s12, -v139
	v_fma_f16 v165, v37, s11, -v164
	v_add_f16_e32 v45, v46, v45
	v_fma_f16 v46, v32, s10, -v140
	v_add_f16_e32 v162, v165, v162
	v_mul_f16_e32 v165, 0xb1e1, v62
	v_add_f16_e32 v45, v46, v45
	v_fma_f16 v46, v33, s15, -v141
	v_fma_f16 v166, v38, s0, -v165
	v_add_f16_e32 v45, v46, v45
	v_fma_f16 v46, v34, s1, -v142
	v_add_f16_e32 v162, v166, v162
	v_mul_f16_e32 v166, 0x3836, v19
	v_add_f16_e32 v45, v46, v45
	v_fma_f16 v46, v35, s13, v143
	v_fma_f16 v167, v21, s1, -v166
	v_add_f16_e32 v46, v25, v46
	v_fma_f16 v47, v36, s11, v145
	v_add_f16_e32 v162, v167, v162
	v_mul_f16_e32 v167, 0x3bb2, v64
	v_add_f16_e32 v46, v47, v46
	v_fma_f16 v47, v37, s0, v146
	v_fma_f16 v168, v14, s14, -v167
	v_add_f16_e32 v46, v47, v46
	v_fma_f16 v47, v38, s14, v147
	;; [unrolled: 7-line block ×3, first 2 shown]
	v_add_f16_e32 v162, v169, v162
	v_mul_f16_e32 v169, 0x35c8, v17
	v_add_f16_e32 v46, v47, v46
	v_fma_f16 v47, v20, s15, v150
	v_fma_f16 v170, v18, s10, -v169
	v_mul_f16_e32 v51, 0xb5c8, v51
	v_add_f16_e32 v46, v47, v46
	v_fma_f16 v47, v18, s1, v151
	v_add_f16_e32 v162, v170, v162
	v_fma_f16 v170, v27, s10, v51
	v_mul_f16_e32 v52, 0xb964, v52
	v_add_f16_e32 v46, v47, v46
	v_fma_f16 v47, v27, s12, -v152
	v_fma_f16 v27, v27, s10, -v51
	v_add_f16_sdwa v170, v25, v170 dst_sel:DWORD dst_unused:UNUSED_PAD src0_sel:WORD_1 src1_sel:DWORD
	v_fma_f16 v171, v28, s12, v52
	v_mul_f16_e32 v53, 0xbb29, v53
	v_add_f16_sdwa v47, v25, v47 dst_sel:DWORD dst_unused:UNUSED_PAD src0_sel:WORD_1 src1_sel:DWORD
	v_fma_f16 v48, v28, s15, -v154
	v_fma_f16 v28, v28, s12, -v52
	v_add_f16_sdwa v27, v25, v27 dst_sel:DWORD dst_unused:UNUSED_PAD src0_sel:WORD_1 src1_sel:DWORD
	v_add_f16_e32 v170, v171, v170
	v_fma_f16 v171, v29, s13, v53
	v_mul_f16_e32 v54, 0xbbf7, v54
	v_add_f16_e32 v47, v48, v47
	v_fma_f16 v48, v29, s11, -v155
	v_add_f16_e32 v27, v28, v27
	v_fma_f16 v28, v29, s13, -v53
	v_add_f16_e32 v170, v171, v170
	v_fma_f16 v171, v30, s15, v54
	v_mul_f16_e32 v55, 0xbbb2, v55
	v_add_f16_e32 v47, v48, v47
	v_fma_f16 v48, v30, s0, -v156
	v_add_f16_e32 v27, v28, v27
	v_fma_f16 v28, v30, s15, -v54
	;; [unrolled: 7-line block ×6, first 2 shown]
	v_add_f16_e32 v170, v171, v170
	v_fma_f16 v171, v35, s10, -v59
	v_mul_f16_e32 v60, 0xb964, v60
	v_add_f16_e32 v47, v48, v47
	v_fma_f16 v48, v35, s12, v161
	v_add_f16_e32 v27, v28, v27
	v_fma_f16 v28, v35, s10, v59
	v_add_f16_e32 v171, v25, v171
	v_fma_f16 v172, v36, s12, -v60
	v_mul_f16_e32 v61, 0xbb29, v61
	v_add_f16_e32 v48, v25, v48
	v_fma_f16 v49, v36, s15, v163
	v_add_f16_e32 v25, v25, v28
	v_fma_f16 v28, v36, s12, v60
	;; [unrolled: 7-line block ×6, first 2 shown]
	v_add_f16_e32 v171, v172, v171
	v_fma_f16 v172, v20, s1, -v65
	v_mul_f16_e32 v17, 0xb1e1, v17
	v_add_f16_e32 v14, v14, v19
	v_fma_f16 v19, v20, s1, v65
	v_add_f16_e32 v171, v172, v171
	v_fma_f16 v172, v18, s0, -v17
	v_add_f16_e32 v14, v19, v14
	v_fma_f16 v17, v18, s0, v17
	v_add_f16_e32 v171, v172, v171
	v_add_f16_e32 v48, v49, v48
	v_fma_f16 v49, v20, s13, v168
	v_add_f16_e32 v14, v17, v14
	v_mul_u32_u24_e32 v17, 0x44, v6
	v_add_f16_e32 v48, v49, v48
	v_fma_f16 v49, v18, s10, v169
	v_add3_u32 v17, 0, v17, v23
	v_pack_b32_f16 v18, v171, v170
	v_pack_b32_f16 v0, v8, v0
	ds_write2_b32 v17, v0, v18 offset1:1
	v_pack_b32_f16 v0, v144, v135
	v_pack_b32_f16 v8, v162, v153
	ds_write2_b32 v17, v8, v0 offset0:2 offset1:3
	v_pack_b32_f16 v0, v108, v99
	v_pack_b32_f16 v8, v126, v117
	ds_write2_b32 v17, v8, v0 offset0:4 offset1:5
	;; [unrolled: 3-line block ×4, first 2 shown]
	v_pack_b32_f16 v0, v40, v16
	v_pack_b32_f16 v1, v15, v12
	v_add_f16_e32 v48, v49, v48
	ds_write2_b32 v17, v1, v0 offset0:10 offset1:11
	v_pack_b32_f16 v0, v44, v43
	v_pack_b32_f16 v1, v42, v41
	ds_write2_b32 v17, v1, v0 offset0:12 offset1:13
	v_pack_b32_f16 v0, v48, v47
	v_pack_b32_f16 v1, v46, v45
	ds_write2_b32 v17, v1, v0 offset0:14 offset1:15
	v_pack_b32_f16 v0, v14, v27
	ds_write_b32 v17, v0 offset:64
.LBB0_20:
	s_or_b64 exec, exec, s[4:5]
	v_mul_u32_u24_e32 v0, 5, v6
	v_lshlrev_b32_e32 v0, 2, v0
	s_waitcnt lgkmcnt(0)
	s_barrier
	global_load_dwordx4 v[8:11], v0, s[8:9]
	global_load_dword v14, v0, s[8:9] offset:16
	ds_read2_b32 v[0:1], v7 offset0:17 offset1:34
	ds_read2_b32 v[12:13], v7 offset0:51 offset1:68
	ds_read_b32 v15, v24
	ds_read_b32 v16, v7 offset:340
	s_movk_i32 s0, 0x3aee
	s_waitcnt lgkmcnt(3)
	v_lshrrev_b32_e32 v18, 16, v0
	v_lshrrev_b32_e32 v19, 16, v1
	s_waitcnt lgkmcnt(2)
	v_lshrrev_b32_e32 v20, 16, v12
	v_lshrrev_b32_e32 v21, 16, v13
	;; [unrolled: 3-line block ×3, first 2 shown]
	s_mov_b32 s1, 0xbaee
	s_barrier
	s_waitcnt vmcnt(1)
	v_mul_f16_sdwa v24, v8, v18 dst_sel:DWORD dst_unused:UNUSED_PAD src0_sel:WORD_1 src1_sel:DWORD
	v_mul_f16_sdwa v25, v8, v0 dst_sel:DWORD dst_unused:UNUSED_PAD src0_sel:WORD_1 src1_sel:DWORD
	;; [unrolled: 1-line block ×8, first 2 shown]
	s_waitcnt vmcnt(0)
	v_mul_f16_sdwa v32, v14, v23 dst_sel:DWORD dst_unused:UNUSED_PAD src0_sel:WORD_1 src1_sel:DWORD
	v_mul_f16_sdwa v33, v14, v16 dst_sel:DWORD dst_unused:UNUSED_PAD src0_sel:WORD_1 src1_sel:DWORD
	v_fma_f16 v0, v8, v0, -v24
	v_fma_f16 v8, v8, v18, v25
	v_fma_f16 v1, v9, v1, -v26
	v_fma_f16 v9, v9, v19, v27
	v_fma_f16 v12, v10, v12, -v28
	v_fma_f16 v10, v10, v20, v29
	v_fma_f16 v13, v11, v13, -v30
	v_fma_f16 v11, v11, v21, v31
	v_fma_f16 v16, v14, v16, -v32
	v_fma_f16 v14, v14, v23, v33
	v_sub_f16_e32 v20, v9, v11
	v_add_f16_e32 v21, v17, v9
	v_add_f16_e32 v9, v9, v11
	;; [unrolled: 1-line block ×3, first 2 shown]
	v_sub_f16_e32 v25, v10, v14
	v_add_f16_e32 v26, v8, v10
	v_add_f16_e32 v10, v10, v14
	;; [unrolled: 1-line block ×4, first 2 shown]
	v_sub_f16_e32 v1, v1, v13
	v_add_f16_e32 v23, v0, v12
	v_sub_f16_e32 v12, v12, v16
	v_fma_f16 v9, v9, -0.5, v17
	v_fma_f16 v0, v24, -0.5, v0
	;; [unrolled: 1-line block ×3, first 2 shown]
	v_add_f16_e32 v13, v18, v13
	v_fma_f16 v15, v19, -0.5, v15
	v_add_f16_e32 v11, v21, v11
	v_add_f16_e32 v14, v26, v14
	v_fma_f16 v17, v1, s1, v9
	v_fma_f16 v1, v1, s0, v9
	;; [unrolled: 1-line block ×4, first 2 shown]
	v_add_f16_e32 v16, v23, v16
	v_fma_f16 v10, v20, s0, v15
	v_fma_f16 v15, v20, s1, v15
	;; [unrolled: 1-line block ×4, first 2 shown]
	v_add_f16_e32 v19, v11, v14
	v_sub_f16_e32 v11, v11, v14
	v_mul_f16_e32 v14, 0x3aee, v18
	v_mul_f16_e32 v20, 0xbaee, v9
	v_add_f16_e32 v12, v13, v16
	v_sub_f16_e32 v13, v13, v16
	v_mul_f16_e32 v16, -0.5, v0
	v_mul_f16_e32 v21, -0.5, v8
	v_fma_f16 v9, v9, 0.5, v14
	v_fma_f16 v14, v18, 0.5, v20
	v_fma_f16 v8, v8, s0, v16
	v_fma_f16 v0, v0, s1, v21
	v_add_f16_e32 v16, v10, v9
	v_add_f16_e32 v20, v17, v14
	;; [unrolled: 1-line block ×4, first 2 shown]
	v_sub_f16_e32 v0, v1, v0
	v_pack_b32_f16 v1, v12, v19
	v_pack_b32_f16 v12, v16, v20
	v_sub_f16_e32 v9, v10, v9
	v_sub_f16_e32 v8, v15, v8
	;; [unrolled: 1-line block ×3, first 2 shown]
	ds_write2_b32 v7, v1, v12 offset1:17
	v_pack_b32_f16 v1, v18, v21
	v_pack_b32_f16 v11, v13, v11
	ds_write2_b32 v7, v1, v11 offset0:34 offset1:51
	v_pack_b32_f16 v1, v9, v10
	v_pack_b32_f16 v0, v8, v0
	ds_write2_b32 v7, v1, v0 offset0:68 offset1:85
	s_waitcnt lgkmcnt(0)
	s_barrier
	s_and_saveexec_b64 s[0:1], vcc
	s_cbranch_execz .LBB0_22
; %bb.21:
	v_mul_lo_u32 v7, s3, v4
	v_mul_lo_u32 v5, s2, v5
	v_mad_u64_u32 v[0:1], s[0:1], s2, v4, 0
	v_lshl_add_u32 v10, v6, 2, v22
	v_add3_u32 v1, v1, v5, v7
	ds_read2_b32 v[4:5], v10 offset1:17
	v_lshl_add_u64 v[0:1], v[0:1], 2, s[6:7]
	v_mov_b32_e32 v7, 0
	v_lshl_add_u64 v[0:1], v[2:3], 2, v[0:1]
	v_lshl_add_u64 v[2:3], v[6:7], 2, v[0:1]
	ds_read2_b32 v[8:9], v10 offset0:34 offset1:51
	s_waitcnt lgkmcnt(1)
	global_store_dword v[2:3], v4, off
	v_add_u32_e32 v2, 17, v6
	v_mov_b32_e32 v3, v7
	v_lshl_add_u64 v[2:3], v[2:3], 2, v[0:1]
	global_store_dword v[2:3], v5, off
	v_add_u32_e32 v2, 34, v6
	v_mov_b32_e32 v3, v7
	v_lshl_add_u64 v[2:3], v[2:3], 2, v[0:1]
	ds_read2_b32 v[4:5], v10 offset0:68 offset1:85
	s_waitcnt lgkmcnt(1)
	global_store_dword v[2:3], v8, off
	v_add_u32_e32 v2, 51, v6
	v_mov_b32_e32 v3, v7
	v_lshl_add_u64 v[2:3], v[2:3], 2, v[0:1]
	global_store_dword v[2:3], v9, off
	v_add_u32_e32 v2, 0x44, v6
	v_mov_b32_e32 v3, v7
	v_add_u32_e32 v6, 0x55, v6
	v_lshl_add_u64 v[2:3], v[2:3], 2, v[0:1]
	v_lshl_add_u64 v[0:1], v[6:7], 2, v[0:1]
	s_waitcnt lgkmcnt(0)
	global_store_dword v[2:3], v4, off
	global_store_dword v[0:1], v5, off
.LBB0_22:
	s_endpgm
	.section	.rodata,"a",@progbits
	.p2align	6, 0x0
	.amdhsa_kernel fft_rtc_fwd_len102_factors_17_6_wgs_119_tpt_17_halfLds_half_op_CI_CI_unitstride_sbrr_C2R_dirReg
		.amdhsa_group_segment_fixed_size 0
		.amdhsa_private_segment_fixed_size 0
		.amdhsa_kernarg_size 104
		.amdhsa_user_sgpr_count 2
		.amdhsa_user_sgpr_dispatch_ptr 0
		.amdhsa_user_sgpr_queue_ptr 0
		.amdhsa_user_sgpr_kernarg_segment_ptr 1
		.amdhsa_user_sgpr_dispatch_id 0
		.amdhsa_user_sgpr_kernarg_preload_length 0
		.amdhsa_user_sgpr_kernarg_preload_offset 0
		.amdhsa_user_sgpr_private_segment_size 0
		.amdhsa_uses_dynamic_stack 0
		.amdhsa_enable_private_segment 0
		.amdhsa_system_sgpr_workgroup_id_x 1
		.amdhsa_system_sgpr_workgroup_id_y 0
		.amdhsa_system_sgpr_workgroup_id_z 0
		.amdhsa_system_sgpr_workgroup_info 0
		.amdhsa_system_vgpr_workitem_id 0
		.amdhsa_next_free_vgpr 173
		.amdhsa_next_free_sgpr 28
		.amdhsa_accum_offset 176
		.amdhsa_reserve_vcc 1
		.amdhsa_float_round_mode_32 0
		.amdhsa_float_round_mode_16_64 0
		.amdhsa_float_denorm_mode_32 3
		.amdhsa_float_denorm_mode_16_64 3
		.amdhsa_dx10_clamp 1
		.amdhsa_ieee_mode 1
		.amdhsa_fp16_overflow 0
		.amdhsa_tg_split 0
		.amdhsa_exception_fp_ieee_invalid_op 0
		.amdhsa_exception_fp_denorm_src 0
		.amdhsa_exception_fp_ieee_div_zero 0
		.amdhsa_exception_fp_ieee_overflow 0
		.amdhsa_exception_fp_ieee_underflow 0
		.amdhsa_exception_fp_ieee_inexact 0
		.amdhsa_exception_int_div_zero 0
	.end_amdhsa_kernel
	.text
.Lfunc_end0:
	.size	fft_rtc_fwd_len102_factors_17_6_wgs_119_tpt_17_halfLds_half_op_CI_CI_unitstride_sbrr_C2R_dirReg, .Lfunc_end0-fft_rtc_fwd_len102_factors_17_6_wgs_119_tpt_17_halfLds_half_op_CI_CI_unitstride_sbrr_C2R_dirReg
                                        ; -- End function
	.section	.AMDGPU.csdata,"",@progbits
; Kernel info:
; codeLenInByte = 7992
; NumSgprs: 34
; NumVgprs: 173
; NumAgprs: 0
; TotalNumVgprs: 173
; ScratchSize: 0
; MemoryBound: 0
; FloatMode: 240
; IeeeMode: 1
; LDSByteSize: 0 bytes/workgroup (compile time only)
; SGPRBlocks: 4
; VGPRBlocks: 21
; NumSGPRsForWavesPerEU: 34
; NumVGPRsForWavesPerEU: 173
; AccumOffset: 176
; Occupancy: 2
; WaveLimiterHint : 1
; COMPUTE_PGM_RSRC2:SCRATCH_EN: 0
; COMPUTE_PGM_RSRC2:USER_SGPR: 2
; COMPUTE_PGM_RSRC2:TRAP_HANDLER: 0
; COMPUTE_PGM_RSRC2:TGID_X_EN: 1
; COMPUTE_PGM_RSRC2:TGID_Y_EN: 0
; COMPUTE_PGM_RSRC2:TGID_Z_EN: 0
; COMPUTE_PGM_RSRC2:TIDIG_COMP_CNT: 0
; COMPUTE_PGM_RSRC3_GFX90A:ACCUM_OFFSET: 43
; COMPUTE_PGM_RSRC3_GFX90A:TG_SPLIT: 0
	.text
	.p2alignl 6, 3212836864
	.fill 256, 4, 3212836864
	.type	__hip_cuid_87c289ccac20996,@object ; @__hip_cuid_87c289ccac20996
	.section	.bss,"aw",@nobits
	.globl	__hip_cuid_87c289ccac20996
__hip_cuid_87c289ccac20996:
	.byte	0                               ; 0x0
	.size	__hip_cuid_87c289ccac20996, 1

	.ident	"AMD clang version 19.0.0git (https://github.com/RadeonOpenCompute/llvm-project roc-6.4.0 25133 c7fe45cf4b819c5991fe208aaa96edf142730f1d)"
	.section	".note.GNU-stack","",@progbits
	.addrsig
	.addrsig_sym __hip_cuid_87c289ccac20996
	.amdgpu_metadata
---
amdhsa.kernels:
  - .agpr_count:     0
    .args:
      - .actual_access:  read_only
        .address_space:  global
        .offset:         0
        .size:           8
        .value_kind:     global_buffer
      - .offset:         8
        .size:           8
        .value_kind:     by_value
      - .actual_access:  read_only
        .address_space:  global
        .offset:         16
        .size:           8
        .value_kind:     global_buffer
      - .actual_access:  read_only
        .address_space:  global
        .offset:         24
        .size:           8
        .value_kind:     global_buffer
      - .actual_access:  read_only
        .address_space:  global
        .offset:         32
        .size:           8
        .value_kind:     global_buffer
      - .offset:         40
        .size:           8
        .value_kind:     by_value
      - .actual_access:  read_only
        .address_space:  global
        .offset:         48
        .size:           8
        .value_kind:     global_buffer
      - .actual_access:  read_only
        .address_space:  global
        .offset:         56
        .size:           8
        .value_kind:     global_buffer
      - .offset:         64
        .size:           4
        .value_kind:     by_value
      - .actual_access:  read_only
        .address_space:  global
        .offset:         72
        .size:           8
        .value_kind:     global_buffer
      - .actual_access:  read_only
        .address_space:  global
        .offset:         80
        .size:           8
        .value_kind:     global_buffer
      - .actual_access:  read_only
        .address_space:  global
        .offset:         88
        .size:           8
        .value_kind:     global_buffer
      - .actual_access:  write_only
        .address_space:  global
        .offset:         96
        .size:           8
        .value_kind:     global_buffer
    .group_segment_fixed_size: 0
    .kernarg_segment_align: 8
    .kernarg_segment_size: 104
    .language:       OpenCL C
    .language_version:
      - 2
      - 0
    .max_flat_workgroup_size: 119
    .name:           fft_rtc_fwd_len102_factors_17_6_wgs_119_tpt_17_halfLds_half_op_CI_CI_unitstride_sbrr_C2R_dirReg
    .private_segment_fixed_size: 0
    .sgpr_count:     34
    .sgpr_spill_count: 0
    .symbol:         fft_rtc_fwd_len102_factors_17_6_wgs_119_tpt_17_halfLds_half_op_CI_CI_unitstride_sbrr_C2R_dirReg.kd
    .uniform_work_group_size: 1
    .uses_dynamic_stack: false
    .vgpr_count:     173
    .vgpr_spill_count: 0
    .wavefront_size: 64
amdhsa.target:   amdgcn-amd-amdhsa--gfx950
amdhsa.version:
  - 1
  - 2
...

	.end_amdgpu_metadata
